;; amdgpu-corpus repo=zjin-lcf/HeCBench kind=compiled arch=gfx1250 opt=O3
	.amdgcn_target "amdgcn-amd-amdhsa--gfx1250"
	.amdhsa_code_object_version 6
	.text
	.protected	_Z13haccmk_kerneliiPKfS0_S0_S0_PfS1_S1_fff ; -- Begin function _Z13haccmk_kerneliiPKfS0_S0_S0_PfS1_S1_fff
	.globl	_Z13haccmk_kerneliiPKfS0_S0_S0_PfS1_S1_fff
	.p2align	8
	.type	_Z13haccmk_kerneliiPKfS0_S0_S0_PfS1_S1_fff,@function
_Z13haccmk_kerneliiPKfS0_S0_S0_PfS1_S1_fff: ; @_Z13haccmk_kerneliiPKfS0_S0_S0_PfS1_S1_fff
; %bb.0:
	s_clause 0x1
	s_load_b32 s4, s[0:1], 0x5c
	s_load_b64 s[2:3], s[0:1], 0x0
	s_bfe_u32 s5, ttmp6, 0x4000c
	s_and_b32 s6, ttmp6, 15
	s_add_co_i32 s5, s5, 1
	s_getreg_b32 s7, hwreg(HW_REG_IB_STS2, 6, 4)
	s_mul_i32 s5, ttmp9, s5
	s_delay_alu instid0(SALU_CYCLE_1) | instskip(SKIP_4) | instid1(SALU_CYCLE_1)
	s_add_co_i32 s6, s6, s5
	s_wait_kmcnt 0x0
	s_and_b32 s4, s4, 0xffff
	s_cmp_eq_u32 s7, 0
	s_cselect_b32 s5, ttmp9, s6
	v_mad_u32 v0, s5, s4, v0
	s_delay_alu instid0(VALU_DEP_1)
	v_cmp_gt_i32_e32 vcc_lo, s2, v0
	s_and_saveexec_b32 s2, vcc_lo
	s_cbranch_execz .LBB0_6
; %bb.1:
	s_load_b96 s[12:14], s[0:1], 0x40
	v_ashrrev_i32_e32 v1, 31, v0
	s_cmp_lt_i32 s3, 1
	s_delay_alu instid0(VALU_DEP_1)
	v_lshlrev_b64_e32 v[0:1], 2, v[0:1]
	s_cbranch_scc1 .LBB0_4
; %bb.2:
	s_load_b256 s[4:11], s[0:1], 0x8
	v_mov_b32_e32 v6, 0
	s_mov_b32 s15, 0xb5c589a2
	s_wait_kmcnt 0x0
	s_delay_alu instid0(VALU_DEP_2)
	v_add_nc_u64_e32 v[2:3], s[4:5], v[0:1]
	v_add_nc_u64_e32 v[8:9], s[6:7], v[0:1]
	;; [unrolled: 1-line block ×3, first 2 shown]
	global_load_b32 v7, v[2:3], off
	global_load_b32 v5, v[8:9], off
	;; [unrolled: 1-line block ×3, first 2 shown]
	s_wait_xcnt 0x2
	v_dual_mov_b32 v2, 0 :: v_dual_mov_b32 v3, v6
.LBB0_3:                                ; =>This Inner Loop Header: Depth=1
	s_load_b32 s2, s[8:9], 0x0
	s_load_b32 s16, s[6:7], 0x0
	;; [unrolled: 1-line block ×3, first 2 shown]
	s_add_co_i32 s3, s3, -1
	s_wait_xcnt 0x0
	s_add_nc_u64 s[4:5], s[4:5], 4
	s_add_nc_u64 s[6:7], s[6:7], 4
	;; [unrolled: 1-line block ×3, first 2 shown]
	s_cmp_eq_u32 s3, 0
	s_wait_kmcnt 0x0
	v_dual_mov_b32 v8, s2 :: v_dual_mov_b32 v9, s16
	s_wait_loadcnt 0x0
	s_delay_alu instid0(VALU_DEP_1) | instskip(NEXT) | instid1(VALU_DEP_1)
	v_pk_add_f32 v[8:9], v[8:9], v[4:5] neg_lo:[0,1] neg_hi:[0,1]
	v_pk_mul_f32 v[10:11], v[8:9], v[8:9]
	v_sub_f32_e32 v12, s17, v7
	s_delay_alu instid0(VALU_DEP_1) | instskip(NEXT) | instid1(VALU_DEP_1)
	v_fma_f32 v11, v12, v12, v11
	v_add_f32_e32 v10, v11, v10
	s_delay_alu instid0(VALU_DEP_1) | instskip(NEXT) | instid1(VALU_DEP_1)
	v_add_f32_e32 v11, s13, v10
	v_mul_f32_e32 v13, 0x4f800000, v11
	v_cmp_gt_f32_e32 vcc_lo, 0xf800000, v11
	s_delay_alu instid0(VALU_DEP_2) | instskip(NEXT) | instid1(VALU_DEP_1)
	v_cndmask_b32_e32 v13, v11, v13, vcc_lo
	v_sqrt_f32_e32 v14, v13
	v_nop
	s_delay_alu instid0(TRANS32_DEP_1) | instskip(NEXT) | instid1(VALU_DEP_1)
	v_dual_add_nc_u32 v15, -1, v14 :: v_dual_add_nc_u32 v16, 1, v14
	v_dual_fma_f32 v17, -v15, v14, v13 :: v_dual_fma_f32 v18, -v16, v14, v13
	s_delay_alu instid0(VALU_DEP_1) | instskip(SKIP_1) | instid1(VALU_DEP_2)
	v_cmp_ge_f32_e64 s2, 0, v17
	v_fmaak_f32 v17, s15, v10, 0x387df61a
	v_cndmask_b32_e64 v14, v14, v15, s2
	s_delay_alu instid0(VALU_DEP_4) | instskip(NEXT) | instid1(VALU_DEP_3)
	v_cmp_lt_f32_e64 s2, 0, v18
	v_fmaak_f32 v17, v10, v17, 0xba8f475b
	s_delay_alu instid0(VALU_DEP_2) | instskip(NEXT) | instid1(VALU_DEP_2)
	v_cndmask_b32_e64 v14, v14, v16, s2
	v_fmaak_f32 v17, v10, v17, 0x3c3c19f7
	s_load_b32 s2, s[10:11], 0x0
	s_wait_xcnt 0x0
	s_add_nc_u64 s[10:11], s[10:11], 4
	v_mul_f32_e32 v15, 0x37800000, v14
	s_delay_alu instid0(VALU_DEP_1) | instskip(SKIP_1) | instid1(VALU_DEP_2)
	v_cndmask_b32_e32 v14, v14, v15, vcc_lo
	v_cmp_class_f32_e64 vcc_lo, v13, 0x260
	v_cndmask_b32_e32 v13, v14, v13, vcc_lo
	s_delay_alu instid0(VALU_DEP_1) | instskip(NEXT) | instid1(VALU_DEP_1)
	v_mul_f32_e32 v11, v11, v13
	v_div_scale_f32 v13, null, v11, v11, 1.0
	v_div_scale_f32 v16, vcc_lo, 1.0, v11, 1.0
	s_delay_alu instid0(VALU_DEP_2) | instskip(SKIP_1) | instid1(TRANS32_DEP_1)
	v_rcp_f32_e32 v14, v13
	v_nop
	v_fma_f32 v15, -v13, v14, 1.0
	s_delay_alu instid0(VALU_DEP_1) | instskip(NEXT) | instid1(VALU_DEP_1)
	v_fmac_f32_e32 v14, v15, v14
	v_mul_f32_e32 v15, v16, v14
	s_delay_alu instid0(VALU_DEP_1) | instskip(NEXT) | instid1(VALU_DEP_1)
	v_fma_f32 v18, -v13, v15, v16
	v_fmac_f32_e32 v15, v18, v14
	s_delay_alu instid0(VALU_DEP_1) | instskip(SKIP_1) | instid1(VALU_DEP_2)
	v_fma_f32 v13, -v13, v15, v16
	v_fmaak_f32 v16, v10, v17, 0xbd99cce0
	v_div_fmas_f32 v13, v13, v14, v15
	v_cmp_gt_f32_e32 vcc_lo, s12, v10
	s_delay_alu instid0(VALU_DEP_3) | instskip(NEXT) | instid1(VALU_DEP_3)
	v_fmaak_f32 v10, v10, v16, 0x3e89e53b
	v_div_fixup_f32 v11, v13, v11, 1.0
	v_cndmask_b32_e64 v14, 0, 1.0, vcc_lo
	s_delay_alu instid0(VALU_DEP_2) | instskip(SKIP_1) | instid1(VALU_DEP_2)
	v_sub_f32_e32 v10, v11, v10
	s_wait_kmcnt 0x0
	v_mul_f32_e32 v13, s2, v14
	s_delay_alu instid0(VALU_DEP_1) | instskip(NEXT) | instid1(VALU_DEP_1)
	v_mul_f32_e32 v10, v13, v10
	v_fmac_f32_e32 v6, v12, v10
	v_pk_fma_f32 v[2:3], v[8:9], v[10:11], v[2:3] op_sel_hi:[1,0,1]
	s_cbranch_scc0 .LBB0_3
	s_branch .LBB0_5
.LBB0_4:
	v_mov_b32_e32 v3, 0
	s_delay_alu instid0(VALU_DEP_1)
	v_dual_mov_b32 v2, v3 :: v_dual_mov_b32 v6, v3
.LBB0_5:
	s_clause 0x1
	s_load_b128 s[4:7], s[0:1], 0x28
	s_load_b64 s[2:3], s[0:1], 0x38
	s_wait_kmcnt 0x0
	v_add_nc_u64_e32 v[4:5], s[4:5], v[0:1]
	v_add_nc_u64_e32 v[8:9], s[6:7], v[0:1]
	;; [unrolled: 1-line block ×3, first 2 shown]
	global_load_b32 v7, v[4:5], off
	global_load_b32 v10, v[8:9], off
	;; [unrolled: 1-line block ×3, first 2 shown]
	s_wait_loadcnt 0x1
	v_dual_fmac_f32 v7, s14, v6 :: v_dual_fmac_f32 v10, s14, v3
	s_wait_loadcnt 0x0
	v_fmac_f32_e32 v11, s14, v2
	global_store_b32 v[4:5], v7, off
	global_store_b32 v[8:9], v10, off
	;; [unrolled: 1-line block ×3, first 2 shown]
.LBB0_6:
	s_endpgm
	.section	.rodata,"a",@progbits
	.p2align	6, 0x0
	.amdhsa_kernel _Z13haccmk_kerneliiPKfS0_S0_S0_PfS1_S1_fff
		.amdhsa_group_segment_fixed_size 0
		.amdhsa_private_segment_fixed_size 0
		.amdhsa_kernarg_size 336
		.amdhsa_user_sgpr_count 2
		.amdhsa_user_sgpr_dispatch_ptr 0
		.amdhsa_user_sgpr_queue_ptr 0
		.amdhsa_user_sgpr_kernarg_segment_ptr 1
		.amdhsa_user_sgpr_dispatch_id 0
		.amdhsa_user_sgpr_kernarg_preload_length 0
		.amdhsa_user_sgpr_kernarg_preload_offset 0
		.amdhsa_user_sgpr_private_segment_size 0
		.amdhsa_wavefront_size32 1
		.amdhsa_uses_dynamic_stack 0
		.amdhsa_enable_private_segment 0
		.amdhsa_system_sgpr_workgroup_id_x 1
		.amdhsa_system_sgpr_workgroup_id_y 0
		.amdhsa_system_sgpr_workgroup_id_z 0
		.amdhsa_system_sgpr_workgroup_info 0
		.amdhsa_system_vgpr_workitem_id 0
		.amdhsa_next_free_vgpr 19
		.amdhsa_next_free_sgpr 18
		.amdhsa_named_barrier_count 0
		.amdhsa_reserve_vcc 1
		.amdhsa_float_round_mode_32 0
		.amdhsa_float_round_mode_16_64 0
		.amdhsa_float_denorm_mode_32 3
		.amdhsa_float_denorm_mode_16_64 3
		.amdhsa_fp16_overflow 0
		.amdhsa_memory_ordered 1
		.amdhsa_forward_progress 1
		.amdhsa_inst_pref_size 7
		.amdhsa_round_robin_scheduling 0
		.amdhsa_exception_fp_ieee_invalid_op 0
		.amdhsa_exception_fp_denorm_src 0
		.amdhsa_exception_fp_ieee_div_zero 0
		.amdhsa_exception_fp_ieee_overflow 0
		.amdhsa_exception_fp_ieee_underflow 0
		.amdhsa_exception_fp_ieee_inexact 0
		.amdhsa_exception_int_div_zero 0
	.end_amdhsa_kernel
	.text
.Lfunc_end0:
	.size	_Z13haccmk_kerneliiPKfS0_S0_S0_PfS1_S1_fff, .Lfunc_end0-_Z13haccmk_kerneliiPKfS0_S0_S0_PfS1_S1_fff
                                        ; -- End function
	.set _Z13haccmk_kerneliiPKfS0_S0_S0_PfS1_S1_fff.num_vgpr, 19
	.set _Z13haccmk_kerneliiPKfS0_S0_S0_PfS1_S1_fff.num_agpr, 0
	.set _Z13haccmk_kerneliiPKfS0_S0_S0_PfS1_S1_fff.numbered_sgpr, 18
	.set _Z13haccmk_kerneliiPKfS0_S0_S0_PfS1_S1_fff.num_named_barrier, 0
	.set _Z13haccmk_kerneliiPKfS0_S0_S0_PfS1_S1_fff.private_seg_size, 0
	.set _Z13haccmk_kerneliiPKfS0_S0_S0_PfS1_S1_fff.uses_vcc, 1
	.set _Z13haccmk_kerneliiPKfS0_S0_S0_PfS1_S1_fff.uses_flat_scratch, 0
	.set _Z13haccmk_kerneliiPKfS0_S0_S0_PfS1_S1_fff.has_dyn_sized_stack, 0
	.set _Z13haccmk_kerneliiPKfS0_S0_S0_PfS1_S1_fff.has_recursion, 0
	.set _Z13haccmk_kerneliiPKfS0_S0_S0_PfS1_S1_fff.has_indirect_call, 0
	.section	.AMDGPU.csdata,"",@progbits
; Kernel info:
; codeLenInByte = 828
; TotalNumSgprs: 20
; NumVgprs: 19
; ScratchSize: 0
; MemoryBound: 0
; FloatMode: 240
; IeeeMode: 1
; LDSByteSize: 0 bytes/workgroup (compile time only)
; SGPRBlocks: 0
; VGPRBlocks: 1
; NumSGPRsForWavesPerEU: 20
; NumVGPRsForWavesPerEU: 19
; NamedBarCnt: 0
; Occupancy: 16
; WaveLimiterHint : 0
; COMPUTE_PGM_RSRC2:SCRATCH_EN: 0
; COMPUTE_PGM_RSRC2:USER_SGPR: 2
; COMPUTE_PGM_RSRC2:TRAP_HANDLER: 0
; COMPUTE_PGM_RSRC2:TGID_X_EN: 1
; COMPUTE_PGM_RSRC2:TGID_Y_EN: 0
; COMPUTE_PGM_RSRC2:TGID_Z_EN: 0
; COMPUTE_PGM_RSRC2:TIDIG_COMP_CNT: 0
	.text
	.p2alignl 7, 3214868480
	.fill 96, 4, 3214868480
	.section	.AMDGPU.gpr_maximums,"",@progbits
	.set amdgpu.max_num_vgpr, 0
	.set amdgpu.max_num_agpr, 0
	.set amdgpu.max_num_sgpr, 0
	.text
	.type	__hip_cuid_d653ad223f96930d,@object ; @__hip_cuid_d653ad223f96930d
	.section	.bss,"aw",@nobits
	.globl	__hip_cuid_d653ad223f96930d
__hip_cuid_d653ad223f96930d:
	.byte	0                               ; 0x0
	.size	__hip_cuid_d653ad223f96930d, 1

	.ident	"AMD clang version 22.0.0git (https://github.com/RadeonOpenCompute/llvm-project roc-7.2.4 26084 f58b06dce1f9c15707c5f808fd002e18c2accf7e)"
	.section	".note.GNU-stack","",@progbits
	.addrsig
	.addrsig_sym __hip_cuid_d653ad223f96930d
	.amdgpu_metadata
---
amdhsa.kernels:
  - .args:
      - .offset:         0
        .size:           4
        .value_kind:     by_value
      - .offset:         4
        .size:           4
        .value_kind:     by_value
      - .actual_access:  read_only
        .address_space:  global
        .offset:         8
        .size:           8
        .value_kind:     global_buffer
      - .actual_access:  read_only
        .address_space:  global
        .offset:         16
        .size:           8
        .value_kind:     global_buffer
      - .actual_access:  read_only
        .address_space:  global
        .offset:         24
        .size:           8
        .value_kind:     global_buffer
      - .actual_access:  read_only
        .address_space:  global
        .offset:         32
        .size:           8
        .value_kind:     global_buffer
      - .address_space:  global
        .offset:         40
        .size:           8
        .value_kind:     global_buffer
      - .address_space:  global
        .offset:         48
        .size:           8
        .value_kind:     global_buffer
      - .address_space:  global
        .offset:         56
        .size:           8
        .value_kind:     global_buffer
      - .offset:         64
        .size:           4
        .value_kind:     by_value
      - .offset:         68
        .size:           4
        .value_kind:     by_value
      - .offset:         72
        .size:           4
        .value_kind:     by_value
      - .offset:         80
        .size:           4
        .value_kind:     hidden_block_count_x
      - .offset:         84
        .size:           4
        .value_kind:     hidden_block_count_y
      - .offset:         88
        .size:           4
        .value_kind:     hidden_block_count_z
      - .offset:         92
        .size:           2
        .value_kind:     hidden_group_size_x
      - .offset:         94
        .size:           2
        .value_kind:     hidden_group_size_y
      - .offset:         96
        .size:           2
        .value_kind:     hidden_group_size_z
      - .offset:         98
        .size:           2
        .value_kind:     hidden_remainder_x
      - .offset:         100
        .size:           2
        .value_kind:     hidden_remainder_y
      - .offset:         102
        .size:           2
        .value_kind:     hidden_remainder_z
      - .offset:         120
        .size:           8
        .value_kind:     hidden_global_offset_x
      - .offset:         128
        .size:           8
        .value_kind:     hidden_global_offset_y
      - .offset:         136
        .size:           8
        .value_kind:     hidden_global_offset_z
      - .offset:         144
        .size:           2
        .value_kind:     hidden_grid_dims
    .group_segment_fixed_size: 0
    .kernarg_segment_align: 8
    .kernarg_segment_size: 336
    .language:       OpenCL C
    .language_version:
      - 2
      - 0
    .max_flat_workgroup_size: 1024
    .name:           _Z13haccmk_kerneliiPKfS0_S0_S0_PfS1_S1_fff
    .private_segment_fixed_size: 0
    .sgpr_count:     20
    .sgpr_spill_count: 0
    .symbol:         _Z13haccmk_kerneliiPKfS0_S0_S0_PfS1_S1_fff.kd
    .uniform_work_group_size: 1
    .uses_dynamic_stack: false
    .vgpr_count:     19
    .vgpr_spill_count: 0
    .wavefront_size: 32
amdhsa.target:   amdgcn-amd-amdhsa--gfx1250
amdhsa.version:
  - 1
  - 2
...

	.end_amdgpu_metadata
